;; amdgpu-corpus repo=ROCm/rocFFT kind=compiled arch=gfx1030 opt=O3
	.text
	.amdgcn_target "amdgcn-amd-amdhsa--gfx1030"
	.amdhsa_code_object_version 6
	.protected	fft_rtc_back_len1638_factors_13_2_3_7_3_wgs_182_tpt_182_halfLds_sp_ip_CI_sbrr_dirReg ; -- Begin function fft_rtc_back_len1638_factors_13_2_3_7_3_wgs_182_tpt_182_halfLds_sp_ip_CI_sbrr_dirReg
	.globl	fft_rtc_back_len1638_factors_13_2_3_7_3_wgs_182_tpt_182_halfLds_sp_ip_CI_sbrr_dirReg
	.p2align	8
	.type	fft_rtc_back_len1638_factors_13_2_3_7_3_wgs_182_tpt_182_halfLds_sp_ip_CI_sbrr_dirReg,@function
fft_rtc_back_len1638_factors_13_2_3_7_3_wgs_182_tpt_182_halfLds_sp_ip_CI_sbrr_dirReg: ; @fft_rtc_back_len1638_factors_13_2_3_7_3_wgs_182_tpt_182_halfLds_sp_ip_CI_sbrr_dirReg
; %bb.0:
	s_clause 0x2
	s_load_dwordx2 s[14:15], s[4:5], 0x18
	s_load_dwordx4 s[8:11], s[4:5], 0x0
	s_load_dwordx2 s[12:13], s[4:5], 0x50
	v_mul_u32_u24_e32 v1, 0x169, v0
	v_mov_b32_e32 v3, 0
	v_add_nc_u32_sdwa v5, s6, v1 dst_sel:DWORD dst_unused:UNUSED_PAD src0_sel:DWORD src1_sel:WORD_1
	v_mov_b32_e32 v1, 0
	v_mov_b32_e32 v6, v3
	v_mov_b32_e32 v2, 0
	s_waitcnt lgkmcnt(0)
	s_load_dwordx2 s[2:3], s[14:15], 0x0
	v_cmp_lt_u64_e64 s0, s[10:11], 2
	s_and_b32 vcc_lo, exec_lo, s0
	s_cbranch_vccnz .LBB0_8
; %bb.1:
	s_load_dwordx2 s[0:1], s[4:5], 0x10
	v_mov_b32_e32 v1, 0
	s_add_u32 s6, s14, 8
	v_mov_b32_e32 v2, 0
	s_addc_u32 s7, s15, 0
	s_mov_b64 s[18:19], 1
	s_waitcnt lgkmcnt(0)
	s_add_u32 s16, s0, 8
	s_addc_u32 s17, s1, 0
.LBB0_2:                                ; =>This Inner Loop Header: Depth=1
	s_load_dwordx2 s[20:21], s[16:17], 0x0
                                        ; implicit-def: $vgpr7_vgpr8
	s_mov_b32 s0, exec_lo
	s_waitcnt lgkmcnt(0)
	v_or_b32_e32 v4, s21, v6
	v_cmpx_ne_u64_e32 0, v[3:4]
	s_xor_b32 s1, exec_lo, s0
	s_cbranch_execz .LBB0_4
; %bb.3:                                ;   in Loop: Header=BB0_2 Depth=1
	v_cvt_f32_u32_e32 v4, s20
	v_cvt_f32_u32_e32 v7, s21
	s_sub_u32 s0, 0, s20
	s_subb_u32 s22, 0, s21
	v_fmac_f32_e32 v4, 0x4f800000, v7
	v_rcp_f32_e32 v4, v4
	v_mul_f32_e32 v4, 0x5f7ffffc, v4
	v_mul_f32_e32 v7, 0x2f800000, v4
	v_trunc_f32_e32 v7, v7
	v_fmac_f32_e32 v4, 0xcf800000, v7
	v_cvt_u32_f32_e32 v7, v7
	v_cvt_u32_f32_e32 v4, v4
	v_mul_lo_u32 v8, s0, v7
	v_mul_hi_u32 v9, s0, v4
	v_mul_lo_u32 v10, s22, v4
	v_add_nc_u32_e32 v8, v9, v8
	v_mul_lo_u32 v9, s0, v4
	v_add_nc_u32_e32 v8, v8, v10
	v_mul_hi_u32 v10, v4, v9
	v_mul_lo_u32 v11, v4, v8
	v_mul_hi_u32 v12, v4, v8
	v_mul_hi_u32 v13, v7, v9
	v_mul_lo_u32 v9, v7, v9
	v_mul_hi_u32 v14, v7, v8
	v_mul_lo_u32 v8, v7, v8
	v_add_co_u32 v10, vcc_lo, v10, v11
	v_add_co_ci_u32_e32 v11, vcc_lo, 0, v12, vcc_lo
	v_add_co_u32 v9, vcc_lo, v10, v9
	v_add_co_ci_u32_e32 v9, vcc_lo, v11, v13, vcc_lo
	v_add_co_ci_u32_e32 v10, vcc_lo, 0, v14, vcc_lo
	v_add_co_u32 v8, vcc_lo, v9, v8
	v_add_co_ci_u32_e32 v9, vcc_lo, 0, v10, vcc_lo
	v_add_co_u32 v4, vcc_lo, v4, v8
	v_add_co_ci_u32_e32 v7, vcc_lo, v7, v9, vcc_lo
	v_mul_hi_u32 v8, s0, v4
	v_mul_lo_u32 v10, s22, v4
	v_mul_lo_u32 v9, s0, v7
	v_add_nc_u32_e32 v8, v8, v9
	v_mul_lo_u32 v9, s0, v4
	v_add_nc_u32_e32 v8, v8, v10
	v_mul_hi_u32 v10, v4, v9
	v_mul_lo_u32 v11, v4, v8
	v_mul_hi_u32 v12, v4, v8
	v_mul_hi_u32 v13, v7, v9
	v_mul_lo_u32 v9, v7, v9
	v_mul_hi_u32 v14, v7, v8
	v_mul_lo_u32 v8, v7, v8
	v_add_co_u32 v10, vcc_lo, v10, v11
	v_add_co_ci_u32_e32 v11, vcc_lo, 0, v12, vcc_lo
	v_add_co_u32 v9, vcc_lo, v10, v9
	v_add_co_ci_u32_e32 v9, vcc_lo, v11, v13, vcc_lo
	v_add_co_ci_u32_e32 v10, vcc_lo, 0, v14, vcc_lo
	v_add_co_u32 v8, vcc_lo, v9, v8
	v_add_co_ci_u32_e32 v9, vcc_lo, 0, v10, vcc_lo
	v_add_co_u32 v4, vcc_lo, v4, v8
	v_add_co_ci_u32_e32 v11, vcc_lo, v7, v9, vcc_lo
	v_mul_hi_u32 v13, v5, v4
	v_mad_u64_u32 v[9:10], null, v6, v4, 0
	v_mad_u64_u32 v[7:8], null, v5, v11, 0
	;; [unrolled: 1-line block ×3, first 2 shown]
	v_add_co_u32 v4, vcc_lo, v13, v7
	v_add_co_ci_u32_e32 v7, vcc_lo, 0, v8, vcc_lo
	v_add_co_u32 v4, vcc_lo, v4, v9
	v_add_co_ci_u32_e32 v4, vcc_lo, v7, v10, vcc_lo
	v_add_co_ci_u32_e32 v7, vcc_lo, 0, v12, vcc_lo
	v_add_co_u32 v4, vcc_lo, v4, v11
	v_add_co_ci_u32_e32 v9, vcc_lo, 0, v7, vcc_lo
	v_mul_lo_u32 v10, s21, v4
	v_mad_u64_u32 v[7:8], null, s20, v4, 0
	v_mul_lo_u32 v11, s20, v9
	v_sub_co_u32 v7, vcc_lo, v5, v7
	v_add3_u32 v8, v8, v11, v10
	v_sub_nc_u32_e32 v10, v6, v8
	v_subrev_co_ci_u32_e64 v10, s0, s21, v10, vcc_lo
	v_add_co_u32 v11, s0, v4, 2
	v_add_co_ci_u32_e64 v12, s0, 0, v9, s0
	v_sub_co_u32 v13, s0, v7, s20
	v_sub_co_ci_u32_e32 v8, vcc_lo, v6, v8, vcc_lo
	v_subrev_co_ci_u32_e64 v10, s0, 0, v10, s0
	v_cmp_le_u32_e32 vcc_lo, s20, v13
	v_cmp_eq_u32_e64 s0, s21, v8
	v_cndmask_b32_e64 v13, 0, -1, vcc_lo
	v_cmp_le_u32_e32 vcc_lo, s21, v10
	v_cndmask_b32_e64 v14, 0, -1, vcc_lo
	v_cmp_le_u32_e32 vcc_lo, s20, v7
	;; [unrolled: 2-line block ×3, first 2 shown]
	v_cndmask_b32_e64 v15, 0, -1, vcc_lo
	v_cmp_eq_u32_e32 vcc_lo, s21, v10
	v_cndmask_b32_e64 v7, v15, v7, s0
	v_cndmask_b32_e32 v10, v14, v13, vcc_lo
	v_add_co_u32 v13, vcc_lo, v4, 1
	v_add_co_ci_u32_e32 v14, vcc_lo, 0, v9, vcc_lo
	v_cmp_ne_u32_e32 vcc_lo, 0, v10
	v_cndmask_b32_e32 v8, v14, v12, vcc_lo
	v_cndmask_b32_e32 v10, v13, v11, vcc_lo
	v_cmp_ne_u32_e32 vcc_lo, 0, v7
	v_cndmask_b32_e32 v8, v9, v8, vcc_lo
	v_cndmask_b32_e32 v7, v4, v10, vcc_lo
.LBB0_4:                                ;   in Loop: Header=BB0_2 Depth=1
	s_andn2_saveexec_b32 s0, s1
	s_cbranch_execz .LBB0_6
; %bb.5:                                ;   in Loop: Header=BB0_2 Depth=1
	v_cvt_f32_u32_e32 v4, s20
	s_sub_i32 s1, 0, s20
	v_rcp_iflag_f32_e32 v4, v4
	v_mul_f32_e32 v4, 0x4f7ffffe, v4
	v_cvt_u32_f32_e32 v4, v4
	v_mul_lo_u32 v7, s1, v4
	v_mul_hi_u32 v7, v4, v7
	v_add_nc_u32_e32 v4, v4, v7
	v_mul_hi_u32 v4, v5, v4
	v_mul_lo_u32 v7, v4, s20
	v_add_nc_u32_e32 v8, 1, v4
	v_sub_nc_u32_e32 v7, v5, v7
	v_subrev_nc_u32_e32 v9, s20, v7
	v_cmp_le_u32_e32 vcc_lo, s20, v7
	v_cndmask_b32_e32 v7, v7, v9, vcc_lo
	v_cndmask_b32_e32 v4, v4, v8, vcc_lo
	v_cmp_le_u32_e32 vcc_lo, s20, v7
	v_add_nc_u32_e32 v8, 1, v4
	v_cndmask_b32_e32 v7, v4, v8, vcc_lo
	v_mov_b32_e32 v8, v3
.LBB0_6:                                ;   in Loop: Header=BB0_2 Depth=1
	s_or_b32 exec_lo, exec_lo, s0
	s_load_dwordx2 s[0:1], s[6:7], 0x0
	v_mul_lo_u32 v4, v8, s20
	v_mul_lo_u32 v11, v7, s21
	v_mad_u64_u32 v[9:10], null, v7, s20, 0
	s_add_u32 s18, s18, 1
	s_addc_u32 s19, s19, 0
	s_add_u32 s6, s6, 8
	s_addc_u32 s7, s7, 0
	;; [unrolled: 2-line block ×3, first 2 shown]
	v_add3_u32 v4, v10, v11, v4
	v_sub_co_u32 v5, vcc_lo, v5, v9
	v_sub_co_ci_u32_e32 v4, vcc_lo, v6, v4, vcc_lo
	s_waitcnt lgkmcnt(0)
	v_mul_lo_u32 v6, s1, v5
	v_mul_lo_u32 v4, s0, v4
	v_mad_u64_u32 v[1:2], null, s0, v5, v[1:2]
	v_cmp_ge_u64_e64 s0, s[18:19], s[10:11]
	s_and_b32 vcc_lo, exec_lo, s0
	v_add3_u32 v2, v6, v2, v4
	s_cbranch_vccnz .LBB0_9
; %bb.7:                                ;   in Loop: Header=BB0_2 Depth=1
	v_mov_b32_e32 v5, v7
	v_mov_b32_e32 v6, v8
	s_branch .LBB0_2
.LBB0_8:
	v_mov_b32_e32 v8, v6
	v_mov_b32_e32 v7, v5
.LBB0_9:
	s_lshl_b64 s[0:1], s[10:11], 3
	v_mul_hi_u32 v3, 0x1681682, v0
	s_add_u32 s0, s14, s0
	s_addc_u32 s1, s15, s1
                                        ; implicit-def: $vgpr14
                                        ; implicit-def: $vgpr12
                                        ; implicit-def: $vgpr10
                                        ; implicit-def: $vgpr32
                                        ; implicit-def: $vgpr30
                                        ; implicit-def: $vgpr28
                                        ; implicit-def: $vgpr24
                                        ; implicit-def: $vgpr26
                                        ; implicit-def: $vgpr20
                                        ; implicit-def: $vgpr16
                                        ; implicit-def: $vgpr18
                                        ; implicit-def: $vgpr22
	s_load_dwordx2 s[0:1], s[0:1], 0x0
	s_load_dwordx2 s[4:5], s[4:5], 0x20
	v_mul_u32_u24_e32 v3, 0xb6, v3
	v_sub_nc_u32_e32 v41, v0, v3
	s_waitcnt lgkmcnt(0)
	v_mul_lo_u32 v4, s0, v8
	v_mul_lo_u32 v5, s1, v7
	v_mad_u64_u32 v[1:2], null, s0, v7, v[1:2]
	v_cmp_gt_u64_e32 vcc_lo, s[4:5], v[7:8]
	v_cmp_gt_u32_e64 s0, 0x7e, v41
	v_mov_b32_e32 v8, 0
	v_mov_b32_e32 v7, 0
	v_add3_u32 v2, v5, v2, v4
	s_and_b32 s1, vcc_lo, s0
	v_lshlrev_b64 v[0:1], 3, v[1:2]
	s_and_saveexec_b32 s4, s1
	s_cbranch_execz .LBB0_11
; %bb.10:
	v_add_nc_u32_e32 v12, 0x7e, v41
	v_add_nc_u32_e32 v13, 0xfc, v41
	v_mad_u64_u32 v[2:3], null, s2, v41, 0
	v_add_nc_u32_e32 v14, 0x17a, v41
	v_mad_u64_u32 v[4:5], null, s2, v12, 0
	v_mad_u64_u32 v[6:7], null, s2, v13, 0
	;; [unrolled: 1-line block ×3, first 2 shown]
	v_add_nc_u32_e32 v17, 0x1f8, v41
	v_add_co_u32 v40, s1, s12, v0
	v_mad_u64_u32 v[10:11], null, s3, v41, v[3:4]
	v_mad_u64_u32 v[11:12], null, s3, v12, v[5:6]
	;; [unrolled: 1-line block ×3, first 2 shown]
	v_add_co_ci_u32_e64 v42, s1, s13, v1, s1
	v_mov_b32_e32 v3, v10
	v_add_nc_u32_e32 v23, 0x2f4, v41
	v_mov_b32_e32 v5, v11
	v_mad_u64_u32 v[10:11], null, s3, v13, v[7:8]
	v_add_nc_u32_e32 v13, 0x276, v41
	v_lshlrev_b64 v[2:3], 3, v[2:3]
	v_lshlrev_b64 v[4:5], 3, v[4:5]
	v_mad_u64_u32 v[21:22], null, s2, v23, 0
	v_add_nc_u32_e32 v24, 0x372, v41
	v_mad_u64_u32 v[11:12], null, s3, v14, v[9:10]
	v_mov_b32_e32 v7, v10
	v_mov_b32_e32 v10, v16
	v_add_co_u32 v2, s1, v40, v2
	v_add_co_ci_u32_e64 v3, s1, v42, v3, s1
	v_mov_b32_e32 v9, v11
	v_mad_u64_u32 v[10:11], null, s3, v17, v[10:11]
	v_mad_u64_u32 v[17:18], null, s2, v13, 0
	v_lshlrev_b64 v[6:7], 3, v[6:7]
	v_add_co_u32 v4, s1, v40, v4
	v_add_co_ci_u32_e64 v5, s1, v42, v5, s1
	v_lshlrev_b64 v[8:9], 3, v[8:9]
	v_add_co_u32 v11, s1, v40, v6
	v_mov_b32_e32 v6, v18
	v_add_co_ci_u32_e64 v12, s1, v42, v7, s1
	v_mov_b32_e32 v16, v10
	v_add_co_u32 v19, s1, v40, v8
	v_mad_u64_u32 v[6:7], null, s3, v13, v[6:7]
	v_add_co_ci_u32_e64 v20, s1, v42, v9, s1
	s_clause 0x3
	global_load_dwordx2 v[7:8], v[2:3], off
	global_load_dwordx2 v[13:14], v[4:5], off
	;; [unrolled: 1-line block ×4, first 2 shown]
	v_lshlrev_b64 v[2:3], 3, v[15:16]
	v_mov_b32_e32 v4, v22
	v_mad_u64_u32 v[15:16], null, s2, v24, 0
	v_mov_b32_e32 v18, v6
	v_add_nc_u32_e32 v43, 0x56a, v41
	v_mad_u64_u32 v[4:5], null, s3, v23, v[4:5]
	v_add_nc_u32_e32 v23, 0x3f0, v41
	v_add_co_u32 v2, s1, v40, v2
	v_mov_b32_e32 v5, v16
	v_lshlrev_b64 v[16:17], 3, v[17:18]
	v_add_co_ci_u32_e64 v3, s1, v42, v3, s1
	v_mov_b32_e32 v22, v4
	v_mad_u64_u32 v[4:5], null, s3, v24, v[5:6]
	v_mad_u64_u32 v[5:6], null, s2, v23, 0
	v_add_co_u32 v18, s1, v40, v16
	v_add_co_ci_u32_e64 v19, s1, v42, v17, s1
	v_add_nc_u32_e32 v17, 0x46e, v41
	v_mov_b32_e32 v16, v4
	v_mov_b32_e32 v4, v6
	v_add_nc_u32_e32 v24, 0x4ec, v41
	v_lshlrev_b64 v[20:21], 3, v[21:22]
	v_mad_u64_u32 v[25:26], null, s2, v17, 0
	v_mad_u64_u32 v[22:23], null, s3, v23, v[4:5]
	;; [unrolled: 1-line block ×3, first 2 shown]
	v_lshlrev_b64 v[15:16], 3, v[15:16]
	v_add_co_u32 v20, s1, v40, v20
	v_mov_b32_e32 v4, v26
	v_mov_b32_e32 v6, v22
	v_mad_u64_u32 v[35:36], null, s2, v43, 0
	v_add_co_ci_u32_e64 v21, s1, v42, v21, s1
	v_mad_u64_u32 v[22:23], null, s3, v17, v[4:5]
	v_mov_b32_e32 v4, v34
	v_add_nc_u32_e32 v17, 0x5e8, v41
	v_add_co_u32 v15, s1, v40, v15
	v_add_co_ci_u32_e64 v16, s1, v42, v16, s1
	v_mad_u64_u32 v[37:38], null, s3, v24, v[4:5]
	v_mad_u64_u32 v[38:39], null, s2, v17, 0
	s_clause 0x3
	global_load_dwordx2 v[31:32], v[2:3], off
	global_load_dwordx2 v[29:30], v[18:19], off
	;; [unrolled: 1-line block ×4, first 2 shown]
	v_lshlrev_b64 v[3:4], 3, v[5:6]
	v_mov_b32_e32 v2, v36
	v_mov_b32_e32 v26, v22
	;; [unrolled: 1-line block ×3, first 2 shown]
	v_mad_u64_u32 v[5:6], null, s3, v43, v[2:3]
	v_mov_b32_e32 v2, v39
	v_add_co_u32 v3, s1, v40, v3
	v_lshlrev_b64 v[15:16], 3, v[25:26]
	v_add_co_ci_u32_e64 v4, s1, v42, v4, s1
	v_mad_u64_u32 v[17:18], null, s3, v17, v[2:3]
	v_lshlrev_b64 v[18:19], 3, v[33:34]
	v_mov_b32_e32 v36, v5
	v_add_co_u32 v5, s1, v40, v15
	v_add_co_ci_u32_e64 v6, s1, v42, v16, s1
	v_mov_b32_e32 v39, v17
	v_lshlrev_b64 v[15:16], 3, v[35:36]
	v_add_co_u32 v17, s1, v40, v18
	v_add_co_ci_u32_e64 v18, s1, v42, v19, s1
	v_lshlrev_b64 v[19:20], 3, v[38:39]
	v_add_co_u32 v15, s1, v40, v15
	v_add_co_ci_u32_e64 v16, s1, v42, v16, s1
	v_add_co_u32 v33, s1, v40, v19
	v_add_co_ci_u32_e64 v34, s1, v42, v20, s1
	s_clause 0x4
	global_load_dwordx2 v[25:26], v[3:4], off
	global_load_dwordx2 v[19:20], v[5:6], off
	;; [unrolled: 1-line block ×5, first 2 shown]
.LBB0_11:
	s_or_b32 exec_lo, exec_lo, s4
	s_waitcnt vmcnt(0)
	v_sub_f32_e32 v51, v14, v18
	v_add_f32_e32 v48, v13, v17
	v_sub_f32_e32 v55, v12, v16
	v_add_f32_e32 v49, v11, v15
	v_sub_f32_e32 v60, v10, v22
	v_mul_f32_e32 v34, 0xbeedf032, v51
	v_mul_f32_e32 v6, 0xbf52af12, v51
	;; [unrolled: 1-line block ×4, first 2 shown]
	v_add_f32_e32 v52, v9, v21
	v_fma_f32 v2, 0x3f62ad3f, v48, -v34
	v_fma_f32 v3, 0x3f116cb1, v48, -v6
	;; [unrolled: 1-line block ×4, first 2 shown]
	v_mul_f32_e32 v36, 0xbe750f2a, v60
	v_add_f32_e32 v2, v7, v2
	v_add_f32_e32 v3, v7, v3
	v_sub_f32_e32 v64, v32, v20
	v_mul_f32_e32 v37, 0xbf7e222b, v51
	v_fma_f32 v45, 0xbf788fa5, v52, -v36
	v_add_f32_e32 v2, v35, v2
	v_mul_f32_e32 v35, 0xbf7e222b, v60
	v_add_f32_e32 v3, v38, v3
	v_add_f32_e32 v56, v31, v19
	v_mul_f32_e32 v38, 0xbf6f5d39, v64
	v_mul_f32_e32 v39, 0x3f29c268, v64
	v_fma_f32 v42, 0x3df6dbef, v52, -v35
	v_sub_f32_e32 v66, v30, v26
	v_mul_f32_e32 v54, 0xbf6f5d39, v51
	v_fma_f32 v5, 0x3df6dbef, v48, -v37
	v_mul_f32_e32 v40, 0xbe750f2a, v55
	v_add_f32_e32 v2, v2, v42
	v_add_f32_e32 v3, v3, v45
	v_fma_f32 v46, 0xbeb58ec6, v56, -v38
	v_fma_f32 v47, 0xbf3f9e67, v56, -v39
	v_add_f32_e32 v50, v29, v25
	v_mul_f32_e32 v42, 0xbf29c268, v66
	v_mul_f32_e32 v45, 0x3f7e222b, v66
	v_fma_f32 v43, 0xbeb58ec6, v48, -v54
	v_add_f32_e32 v5, v7, v5
	v_fma_f32 v44, 0xbf788fa5, v49, -v40
	v_add_f32_e32 v2, v46, v2
	v_add_f32_e32 v3, v47, v3
	v_fma_f32 v57, 0xbf3f9e67, v50, -v42
	v_fma_f32 v58, 0x3df6dbef, v50, -v45
	v_mul_f32_e32 v67, 0x3f29c268, v55
	v_mul_f32_e32 v70, 0xbf29c268, v51
	v_add_f32_e32 v5, v44, v5
	v_add_f32_e32 v2, v57, v2
	;; [unrolled: 1-line block ×4, first 2 shown]
	v_fma_f32 v58, 0xbf3f9e67, v49, -v67
	v_fma_f32 v59, 0xbf3f9e67, v48, -v70
	v_mul_f32_e32 v71, 0x3f7e222b, v55
	v_mul_f32_e32 v57, 0x3f6f5d39, v60
	v_mul_f32_e32 v68, 0x3eedf032, v60
	v_add_f32_e32 v43, v58, v43
	v_add_f32_e32 v59, v7, v59
	v_fma_f32 v61, 0x3df6dbef, v49, -v71
	v_fma_f32 v63, 0xbeb58ec6, v52, -v57
	;; [unrolled: 1-line block ×3, first 2 shown]
	v_mul_f32_e32 v72, 0xbf52af12, v60
	v_mul_f32_e32 v58, 0x3eedf032, v64
	v_add_f32_e32 v61, v61, v59
	v_add_f32_e32 v5, v5, v63
	;; [unrolled: 1-line block ×3, first 2 shown]
	v_fma_f32 v63, 0x3f116cb1, v52, -v72
	v_fma_f32 v65, 0x3f62ad3f, v56, -v58
	v_mul_f32_e32 v69, 0xbf7e222b, v64
	v_mul_f32_e32 v74, 0x3e750f2a, v64
	;; [unrolled: 1-line block ×3, first 2 shown]
	v_sub_f32_e32 v62, v28, v24
	v_add_f32_e32 v61, v61, v63
	v_add_f32_e32 v5, v65, v5
	v_fma_f32 v65, 0x3df6dbef, v56, -v69
	v_fma_f32 v75, 0xbf788fa5, v56, -v74
	;; [unrolled: 1-line block ×3, first 2 shown]
	v_mul_f32_e32 v63, 0x3e750f2a, v66
	v_mul_f32_e32 v73, 0x3eedf032, v66
	v_add_f32_e32 v53, v27, v23
	v_mul_f32_e32 v46, 0xbe750f2a, v62
	v_mul_f32_e32 v47, 0x3eedf032, v62
	v_add_f32_e32 v43, v65, v43
	v_add_f32_e32 v78, v75, v61
	;; [unrolled: 1-line block ×3, first 2 shown]
	v_fma_f32 v77, 0xbf788fa5, v50, -v63
	v_fma_f32 v79, 0x3f62ad3f, v50, -v73
	v_mul_f32_e32 v65, 0x3f52af12, v62
	v_mul_f32_e32 v75, 0xbf6f5d39, v62
	;; [unrolled: 1-line block ×3, first 2 shown]
	v_fma_f32 v3, 0xbf788fa5, v53, -v46
	v_fma_f32 v76, 0x3f62ad3f, v53, -v47
	v_add_f32_e32 v43, v77, v43
	v_add_f32_e32 v77, v79, v78
	v_fma_f32 v78, 0x3f116cb1, v53, -v65
	v_fma_f32 v79, 0xbeb58ec6, v53, -v75
	;; [unrolled: 1-line block ×3, first 2 shown]
	v_add_f32_e32 v3, v3, v2
	v_add_f32_e32 v2, v76, v44
	;; [unrolled: 1-line block ×5, first 2 shown]
	s_and_saveexec_b32 s1, s0
	s_cbranch_execz .LBB0_13
; %bb.12:
	v_mul_f32_e32 v76, 0xbf788fa5, v48
	v_mul_f32_e32 v77, 0x3f62ad3f, v49
	;; [unrolled: 1-line block ×5, first 2 shown]
	v_fmamk_f32 v81, v51, 0x3e750f2a, v76
	v_fmamk_f32 v85, v55, 0xbeedf032, v77
	v_fmac_f32_e32 v76, 0xbe750f2a, v51
	v_fmamk_f32 v51, v60, 0x3f29c268, v78
	v_mul_f32_e32 v82, 0xbf3f9e67, v48
	v_add_f32_e32 v81, v7, v81
	v_fmac_f32_e32 v78, 0xbf29c268, v60
	v_fmamk_f32 v60, v64, 0xbf52af12, v79
	v_mul_f32_e32 v83, 0x3df6dbef, v49
	v_mul_f32_e32 v84, 0x3df6dbef, v53
	v_add_f32_e32 v81, v85, v81
	v_fmac_f32_e32 v79, 0x3f52af12, v64
	v_fmamk_f32 v64, v66, 0x3f6f5d39, v80
	v_add_f32_e32 v70, v70, v82
	v_mul_f32_e32 v86, 0x3f116cb1, v52
	v_add_f32_e32 v51, v81, v51
	v_mul_f32_e32 v87, 0x3f62ad3f, v48
	v_fmac_f32_e32 v80, 0xbf6f5d39, v66
	v_add_f32_e32 v70, v7, v70
	v_add_f32_e32 v66, v72, v86
	;; [unrolled: 1-line block ×4, first 2 shown]
	v_fmamk_f32 v71, v62, 0xbf7e222b, v84
	v_mul_f32_e32 v72, 0x3f116cb1, v49
	v_fmac_f32_e32 v84, 0x3f7e222b, v62
	v_add_f32_e32 v51, v64, v51
	v_mul_f32_e32 v64, 0x3f116cb1, v48
	v_add_f32_e32 v60, v60, v70
	v_mul_f32_e32 v70, 0xbf788fa5, v56
	v_mul_f32_e32 v62, 0x3df6dbef, v50
	v_add_f32_e32 v51, v71, v51
	v_mul_f32_e32 v71, 0x3df6dbef, v48
	v_mul_f32_e32 v48, 0xbeb58ec6, v48
	v_add_f32_e32 v60, v60, v66
	v_mul_f32_e32 v66, 0xbf3f9e67, v49
	v_add_f32_e32 v70, v74, v70
	v_add_f32_e32 v37, v37, v71
	;; [unrolled: 1-line block ×3, first 2 shown]
	v_mul_f32_e32 v54, 0xbeb58ec6, v49
	v_add_f32_e32 v66, v67, v66
	v_mul_f32_e32 v67, 0x3f62ad3f, v50
	v_add_f32_e32 v60, v70, v60
	v_add_f32_e32 v48, v7, v48
	v_mul_f32_e32 v70, 0x3f62ad3f, v52
	v_mul_f32_e32 v49, 0xbf788fa5, v49
	v_add_f32_e32 v67, v73, v67
	v_mul_f32_e32 v73, 0x3df6dbef, v52
	v_add_f32_e32 v48, v66, v48
	;; [unrolled: 2-line block ×3, first 2 shown]
	v_add_f32_e32 v60, v67, v60
	v_mul_f32_e32 v67, 0x3df6dbef, v56
	v_mul_f32_e32 v70, 0xbf788fa5, v52
	v_add_f32_e32 v66, v75, v66
	v_add_f32_e32 v48, v48, v68
	v_mul_f32_e32 v52, 0xbeb58ec6, v52
	v_add_f32_e32 v67, v69, v67
	v_mul_f32_e32 v69, 0xbf3f9e67, v50
	v_add_f32_e32 v60, v66, v60
	v_add_f32_e32 v66, v7, v13
	;; [unrolled: 1-line block ×4, first 2 shown]
	v_mul_f32_e32 v67, 0x3f116cb1, v50
	v_mul_f32_e32 v50, 0xbf788fa5, v50
	v_add_f32_e32 v66, v66, v11
	v_add_f32_e32 v37, v7, v37
	;; [unrolled: 1-line block ×16, first 2 shown]
	v_fmac_f32_e32 v77, 0x3eedf032, v55
	v_add_f32_e32 v55, v7, v76
	v_mul_f32_e32 v74, 0xbeb58ec6, v56
	v_mul_f32_e32 v68, 0xbf3f9e67, v56
	v_add_f32_e32 v40, v40, v27
	v_add_f32_e32 v35, v35, v73
	;; [unrolled: 1-line block ×4, first 2 shown]
	v_mul_f32_e32 v56, 0x3f62ad3f, v56
	v_add_f32_e32 v34, v40, v23
	v_add_f32_e32 v55, v77, v55
	;; [unrolled: 1-line block ×9, first 2 shown]
	v_mul_f32_e32 v71, 0xbf788fa5, v53
	v_add_f32_e32 v34, v34, v19
	v_add_f32_e32 v33, v35, v33
	;; [unrolled: 1-line block ×4, first 2 shown]
	v_mul_f32_e32 v49, 0x3f62ad3f, v53
	v_add_f32_e32 v6, v34, v21
	v_mul_f32_e32 v66, 0xbf3f9e67, v53
	v_add_f32_e32 v7, v52, v37
	v_add_f32_e32 v36, v59, v67
	;; [unrolled: 1-line block ×3, first 2 shown]
	v_mul_f32_e32 v53, 0x3f116cb1, v53
	v_add_f32_e32 v55, v79, v55
	v_add_f32_e32 v33, v35, v33
	;; [unrolled: 1-line block ×13, first 2 shown]
	v_mad_u32_u24 v35, v41, 52, 0
	v_add_f32_e32 v7, v36, v7
	v_add_f32_e32 v4, v34, v4
	;; [unrolled: 1-line block ×4, first 2 shown]
	ds_write2_b32 v35, v6, v33 offset1:1
	ds_write2_b32 v35, v4, v7 offset0:2 offset1:3
	ds_write2_b32 v35, v34, v60 offset0:4 offset1:5
	;; [unrolled: 1-line block ×5, first 2 shown]
	ds_write_b32 v35, v3 offset:48
.LBB0_13:
	s_or_b32 exec_lo, exec_lo, s1
	v_lshl_add_u32 v42, v41, 2, 0
	s_waitcnt lgkmcnt(0)
	s_barrier
	buffer_gl0_inv
	v_cmp_gt_u32_e64 s1, 0x5b, v41
	v_add_nc_u32_e32 v4, 0xc00, v42
	v_add_nc_u32_e32 v6, 0x500, v42
	v_add_nc_u32_e32 v7, 0x1200, v42
	ds_read2_b32 v[37:38], v42 offset1:182
	ds_read2_b32 v[35:36], v4 offset0:51 offset1:233
	ds_read2_b32 v[39:40], v6 offset0:44 offset1:226
	;; [unrolled: 1-line block ×3, first 2 shown]
	s_and_saveexec_b32 s4, s1
	s_cbranch_execz .LBB0_15
; %bb.14:
	ds_read_b32 v44, v42 offset:2912
	ds_read_b32 v43, v42 offset:6188
.LBB0_15:
	s_or_b32 exec_lo, exec_lo, s4
	v_sub_f32_e32 v47, v13, v17
	v_add_f32_e32 v17, v14, v18
	v_sub_f32_e32 v11, v11, v15
	v_add_f32_e32 v4, v12, v16
	v_sub_f32_e32 v29, v29, v25
	v_mul_f32_e32 v52, 0xbf52af12, v47
	v_mul_f32_e32 v54, 0xbf6f5d39, v47
	;; [unrolled: 1-line block ×5, first 2 shown]
	v_fmamk_f32 v7, v17, 0x3f116cb1, v52
	v_fmamk_f32 v15, v17, 0xbeb58ec6, v54
	v_mul_f32_e32 v55, 0xbf29c268, v47
	v_fmamk_f32 v6, v17, 0x3f62ad3f, v56
	v_mul_f32_e32 v50, 0xbf52af12, v11
	v_fmamk_f32 v13, v17, 0x3df6dbef, v53
	v_add_f32_e32 v7, v8, v7
	v_fmamk_f32 v49, v4, 0xbeb58ec6, v48
	v_add_f32_e32 v60, v8, v15
	v_sub_f32_e32 v15, v9, v21
	v_mul_f32_e32 v75, 0xbe750f2a, v11
	v_mul_f32_e32 v59, 0x3f29c268, v11
	v_add_f32_e32 v6, v8, v6
	v_fmamk_f32 v45, v17, 0xbf3f9e67, v55
	v_fmamk_f32 v46, v4, 0x3f116cb1, v50
	v_add_f32_e32 v58, v8, v13
	v_add_f32_e32 v7, v49, v7
	v_mul_f32_e32 v57, 0x3f7e222b, v11
	v_add_f32_e32 v13, v10, v22
	v_mul_f32_e32 v51, 0xbf7e222b, v15
	v_mul_f32_e32 v49, 0xbe750f2a, v15
	v_fmamk_f32 v9, v4, 0xbf788fa5, v75
	v_fmamk_f32 v21, v4, 0xbf3f9e67, v59
	v_add_f32_e32 v45, v8, v45
	v_add_f32_e32 v6, v46, v6
	v_fmamk_f32 v46, v4, 0x3df6dbef, v57
	v_fmamk_f32 v61, v13, 0x3df6dbef, v51
	;; [unrolled: 1-line block ×3, first 2 shown]
	v_add_f32_e32 v9, v9, v58
	v_add_f32_e32 v58, v21, v60
	v_sub_f32_e32 v21, v31, v19
	v_mul_f32_e32 v76, 0x3f6f5d39, v15
	v_mul_f32_e32 v69, 0x3eedf032, v15
	;; [unrolled: 1-line block ×3, first 2 shown]
	v_add_f32_e32 v45, v46, v45
	v_add_f32_e32 v6, v6, v61
	;; [unrolled: 1-line block ×4, first 2 shown]
	v_mul_f32_e32 v31, 0xbf6f5d39, v21
	v_fmamk_f32 v46, v13, 0xbeb58ec6, v76
	v_fmamk_f32 v61, v13, 0x3f62ad3f, v69
	;; [unrolled: 1-line block ×3, first 2 shown]
	v_mul_f32_e32 v60, 0x3f29c268, v21
	v_fmamk_f32 v63, v19, 0xbeb58ec6, v31
	v_add_f32_e32 v9, v9, v46
	v_add_f32_e32 v46, v58, v61
	v_add_f32_e32 v45, v45, v62
	v_fmamk_f32 v62, v19, 0xbf3f9e67, v60
	v_mul_f32_e32 v70, 0x3eedf032, v21
	v_mul_f32_e32 v58, 0xbf7e222b, v21
	;; [unrolled: 1-line block ×3, first 2 shown]
	v_add_f32_e32 v6, v63, v6
	v_add_f32_e32 v7, v62, v7
	v_fmamk_f32 v62, v19, 0x3f62ad3f, v70
	v_fmamk_f32 v63, v19, 0x3df6dbef, v58
	;; [unrolled: 1-line block ×3, first 2 shown]
	v_add_f32_e32 v25, v30, v26
	v_mul_f32_e32 v66, 0xbf29c268, v29
	v_add_f32_e32 v9, v62, v9
	v_add_f32_e32 v46, v63, v46
	;; [unrolled: 1-line block ×3, first 2 shown]
	v_mul_f32_e32 v68, 0x3f7e222b, v29
	v_fmamk_f32 v63, v25, 0xbf3f9e67, v66
	v_mul_f32_e32 v71, 0xbf52af12, v29
	v_mul_f32_e32 v62, 0x3e750f2a, v29
	;; [unrolled: 1-line block ×3, first 2 shown]
	v_fmamk_f32 v65, v25, 0x3df6dbef, v68
	v_add_f32_e32 v6, v63, v6
	v_fmamk_f32 v63, v25, 0x3f116cb1, v71
	v_fmamk_f32 v72, v25, 0xbf788fa5, v62
	;; [unrolled: 1-line block ×3, first 2 shown]
	v_sub_f32_e32 v27, v27, v23
	v_add_f32_e32 v77, v65, v7
	v_add_f32_e32 v9, v63, v9
	;; [unrolled: 1-line block ×5, first 2 shown]
	v_mul_f32_e32 v72, 0xbe750f2a, v27
	v_mul_f32_e32 v73, 0x3eedf032, v27
	;; [unrolled: 1-line block ×5, first 2 shown]
	v_fmamk_f32 v7, v23, 0xbf788fa5, v72
	v_fmamk_f32 v78, v23, 0x3f62ad3f, v73
	v_fmamk_f32 v79, v23, 0xbf3f9e67, v74
	v_fmamk_f32 v80, v23, 0x3f116cb1, v63
	v_fmamk_f32 v81, v23, 0xbeb58ec6, v65
	v_add_f32_e32 v7, v7, v6
	v_add_f32_e32 v6, v78, v77
	;; [unrolled: 1-line block ×5, first 2 shown]
	s_waitcnt lgkmcnt(0)
	s_barrier
	buffer_gl0_inv
	s_and_saveexec_b32 s4, s0
	s_cbranch_execz .LBB0_17
; %bb.16:
	v_add_f32_e32 v14, v8, v14
	v_mul_f32_e32 v77, 0x3f62ad3f, v17
	v_mul_f32_e32 v78, 0x3f116cb1, v17
	v_mul_f32_e32 v79, 0x3df6dbef, v17
	v_mul_f32_e32 v80, 0xbeb58ec6, v17
	v_add_f32_e32 v12, v14, v12
	v_mul_f32_e32 v14, 0xbf3f9e67, v17
	v_mul_f32_e32 v47, 0xbe750f2a, v47
	;; [unrolled: 1-line block ×4, first 2 shown]
	v_add_f32_e32 v10, v12, v10
	v_sub_f32_e32 v56, v77, v56
	v_sub_f32_e32 v14, v14, v55
	v_mul_f32_e32 v12, 0xbf3f9e67, v4
	v_mul_f32_e32 v82, 0xbeb58ec6, v4
	v_add_f32_e32 v10, v10, v32
	v_mul_f32_e32 v11, 0x3eedf032, v11
	v_add_f32_e32 v14, v8, v14
	v_mul_f32_e32 v85, 0x3df6dbef, v13
	v_sub_f32_e32 v12, v12, v59
	v_add_f32_e32 v10, v10, v30
	v_mul_f32_e32 v84, 0x3df6dbef, v4
	v_mul_f32_e32 v86, 0xbf788fa5, v13
	v_mul_f32_e32 v32, 0xbeb58ec6, v13
	v_mul_f32_e32 v88, 0x3f116cb1, v13
	v_add_f32_e32 v10, v10, v28
	v_mul_f32_e32 v15, 0xbf29c268, v15
	v_mul_f32_e32 v89, 0xbeb58ec6, v19
	v_mul_f32_e32 v87, 0x3f62ad3f, v13
	v_mul_f32_e32 v30, 0xbf3f9e67, v19
	;; [unrolled: 5-line block ×4, first 2 shown]
	v_add_f32_e32 v10, v10, v20
	v_sub_f32_e32 v20, v78, v52
	v_sub_f32_e32 v52, v79, v53
	v_sub_f32_e32 v53, v80, v54
	v_mul_f32_e32 v95, 0xbf788fa5, v25
	v_add_f32_e32 v10, v10, v22
	v_fma_f32 v22, 0xbf788fa5, v17, -v47
	v_fmac_f32_e32 v47, 0xbf788fa5, v17
	v_sub_f32_e32 v17, v81, v50
	v_add_f32_e32 v50, v8, v56
	v_add_f32_e32 v10, v16, v10
	;; [unrolled: 1-line block ×9, first 2 shown]
	v_sub_f32_e32 v47, v83, v75
	v_sub_f32_e32 v22, v82, v48
	v_mul_f32_e32 v97, 0x3f62ad3f, v23
	v_mul_f32_e32 v98, 0xbf3f9e67, v23
	;; [unrolled: 1-line block ×3, first 2 shown]
	v_add_f32_e32 v20, v47, v20
	v_fma_f32 v47, 0x3f62ad3f, v4, -v11
	v_fmac_f32_e32 v11, 0x3f62ad3f, v4
	v_add_f32_e32 v4, v12, v52
	v_sub_f32_e32 v12, v85, v51
	v_add_f32_e32 v16, v22, v16
	v_sub_f32_e32 v22, v84, v57
	v_add_f32_e32 v8, v11, v8
	v_sub_f32_e32 v11, v86, v49
	v_add_f32_e32 v12, v17, v12
	v_sub_f32_e32 v17, v32, v76
	v_add_f32_e32 v14, v22, v14
	v_add_f32_e32 v18, v47, v18
	;; [unrolled: 1-line block ×3, first 2 shown]
	v_sub_f32_e32 v16, v88, v67
	v_add_f32_e32 v17, v20, v17
	v_fma_f32 v20, 0xbf3f9e67, v13, -v15
	v_fmac_f32_e32 v15, 0xbf3f9e67, v13
	v_sub_f32_e32 v22, v87, v69
	v_add_f32_e32 v13, v14, v16
	v_sub_f32_e32 v14, v89, v31
	v_add_f32_e32 v16, v18, v20
	;; [unrolled: 2-line block ×3, first 2 shown]
	v_add_f32_e32 v8, v8, v15
	v_add_f32_e32 v12, v14, v12
	v_mul_f32_e32 v14, 0x3f52af12, v21
	v_sub_f32_e32 v15, v90, v70
	v_add_f32_e32 v11, v18, v11
	v_sub_f32_e32 v18, v91, v58
	v_mul_f32_e32 v99, 0xbeb58ec6, v23
	v_fma_f32 v20, 0x3f116cb1, v19, -v14
	v_fmac_f32_e32 v14, 0x3f116cb1, v19
	v_add_f32_e32 v15, v15, v17
	v_sub_f32_e32 v17, v92, v61
	v_add_f32_e32 v4, v18, v4
	v_sub_f32_e32 v18, v28, v66
	;; [unrolled: 2-line block ×4, first 2 shown]
	v_add_f32_e32 v12, v18, v12
	v_mul_f32_e32 v18, 0xbf6f5d39, v29
	v_add_f32_e32 v11, v14, v11
	v_sub_f32_e32 v14, v24, v64
	v_add_f32_e32 v16, v20, v16
	v_add_f32_e32 v15, v17, v15
	v_fma_f32 v17, 0xbeb58ec6, v25, -v18
	v_fmac_f32_e32 v18, 0xbeb58ec6, v25
	v_add_f32_e32 v13, v14, v13
	v_sub_f32_e32 v14, v96, v72
	v_sub_f32_e32 v19, v95, v62
	v_add_f32_e32 v16, v17, v16
	v_sub_f32_e32 v17, v97, v73
	v_add_f32_e32 v8, v18, v8
	;; [unrolled: 2-line block ×3, first 2 shown]
	v_mul_f32_e32 v14, 0x3f7e222b, v27
	v_add_f32_e32 v4, v19, v4
	v_add_f32_e32 v11, v17, v11
	v_sub_f32_e32 v17, v26, v63
	v_add_f32_e32 v15, v18, v15
	v_sub_f32_e32 v18, v99, v65
	v_fma_f32 v19, 0x3df6dbef, v23, -v14
	v_fmac_f32_e32 v14, 0x3df6dbef, v23
	v_add_f32_e32 v4, v17, v4
	v_mad_u32_u24 v17, v41, 48, v42
	v_add_f32_e32 v13, v18, v13
	v_add_f32_e32 v16, v19, v16
	;; [unrolled: 1-line block ×3, first 2 shown]
	ds_write2_b32 v17, v10, v12 offset1:1
	ds_write2_b32 v17, v11, v15 offset0:2 offset1:3
	ds_write2_b32 v17, v4, v13 offset0:4 offset1:5
	;; [unrolled: 1-line block ×5, first 2 shown]
	ds_write_b32 v17, v7 offset:48
.LBB0_17:
	s_or_b32 exec_lo, exec_lo, s4
	v_add_nc_u32_e32 v4, 0xc00, v42
	v_add_nc_u32_e32 v8, 0x500, v42
	;; [unrolled: 1-line block ×3, first 2 shown]
	s_waitcnt lgkmcnt(0)
	s_barrier
	buffer_gl0_inv
	ds_read2_b32 v[12:13], v42 offset1:182
	ds_read2_b32 v[10:11], v4 offset0:51 offset1:233
	ds_read2_b32 v[16:17], v8 offset0:44 offset1:226
	;; [unrolled: 1-line block ×3, first 2 shown]
	s_and_saveexec_b32 s0, s1
	s_cbranch_execz .LBB0_19
; %bb.18:
	ds_read_b32 v45, v42 offset:2912
	ds_read_b32 v46, v42 offset:6188
.LBB0_19:
	s_or_b32 exec_lo, exec_lo, s0
	v_and_b32_e32 v4, 0xff, v41
	v_add_nc_u32_e32 v28, 0xb6, v41
	v_mov_b32_e32 v8, 0x4ec5
	v_add_nc_u32_e32 v29, 0x16c, v41
	v_add_nc_u32_e32 v31, 0x222, v41
	v_mul_lo_u16 v32, 0x4f, v4
	v_add_nc_u32_e32 v30, 0x2d8, v41
	v_mul_u32_u24_sdwa v4, v28, v8 dst_sel:DWORD dst_unused:UNUSED_PAD src0_sel:WORD_0 src1_sel:DWORD
	v_mul_u32_u24_sdwa v14, v29, v8 dst_sel:DWORD dst_unused:UNUSED_PAD src0_sel:WORD_0 src1_sel:DWORD
	;; [unrolled: 1-line block ×3, first 2 shown]
	v_lshrrev_b16 v48, 10, v32
	v_mul_u32_u24_sdwa v8, v30, v8 dst_sel:DWORD dst_unused:UNUSED_PAD src0_sel:WORD_0 src1_sel:DWORD
	v_lshrrev_b32_e32 v4, 18, v4
	v_lshrrev_b32_e32 v49, 18, v14
	;; [unrolled: 1-line block ×3, first 2 shown]
	v_mul_lo_u16 v14, v48, 13
	v_lshrrev_b32_e32 v51, 18, v8
	v_mul_lo_u16 v8, v4, 13
	v_mul_lo_u16 v15, v49, 13
	;; [unrolled: 1-line block ×3, first 2 shown]
	v_sub_nc_u16 v52, v41, v14
	v_mov_b32_e32 v24, 3
	v_sub_nc_u16 v53, v28, v8
	v_mul_lo_u16 v8, v51, 13
	v_sub_nc_u16 v54, v29, v15
	v_sub_nc_u16 v55, v31, v20
	v_lshlrev_b32_sdwa v14, v24, v52 dst_sel:DWORD dst_unused:UNUSED_PAD src0_sel:DWORD src1_sel:BYTE_0
	v_lshlrev_b32_sdwa v20, v24, v53 dst_sel:DWORD dst_unused:UNUSED_PAD src0_sel:DWORD src1_sel:WORD_0
	v_sub_nc_u16 v47, v30, v8
	v_lshlrev_b32_sdwa v22, v24, v54 dst_sel:DWORD dst_unused:UNUSED_PAD src0_sel:DWORD src1_sel:WORD_0
	v_lshlrev_b32_sdwa v25, v24, v55 dst_sel:DWORD dst_unused:UNUSED_PAD src0_sel:DWORD src1_sel:WORD_0
	s_clause 0x3
	global_load_dwordx2 v[14:15], v14, s[8:9]
	global_load_dwordx2 v[20:21], v20, s[8:9]
	;; [unrolled: 1-line block ×4, first 2 shown]
	v_lshlrev_b32_sdwa v8, v24, v47 dst_sel:DWORD dst_unused:UNUSED_PAD src0_sel:DWORD src1_sel:WORD_0
	v_mov_b32_e32 v56, 0x68
	v_mul_u32_u24_e32 v4, 0x68, v4
	v_mul_u32_u24_e32 v58, 0x68, v50
	;; [unrolled: 1-line block ×3, first 2 shown]
	global_load_dwordx2 v[24:25], v8, s[8:9]
	v_mov_b32_e32 v8, 2
	v_mul_u32_u24_sdwa v56, v48, v56 dst_sel:DWORD dst_unused:UNUSED_PAD src0_sel:WORD_0 src1_sel:DWORD
	v_mul_lo_u16 v48, v51, 26
	s_waitcnt vmcnt(0) lgkmcnt(0)
	s_barrier
	v_lshlrev_b32_sdwa v50, v8, v53 dst_sel:DWORD dst_unused:UNUSED_PAD src0_sel:DWORD src1_sel:WORD_0
	v_lshlrev_b32_sdwa v49, v8, v52 dst_sel:DWORD dst_unused:UNUSED_PAD src0_sel:DWORD src1_sel:BYTE_0
	v_lshlrev_b32_sdwa v51, v8, v54 dst_sel:DWORD dst_unused:UNUSED_PAD src0_sel:DWORD src1_sel:WORD_0
	v_lshlrev_b32_sdwa v52, v8, v55 dst_sel:DWORD dst_unused:UNUSED_PAD src0_sel:DWORD src1_sel:WORD_0
	buffer_gl0_inv
	v_add3_u32 v50, 0, v4, v50
	v_add3_u32 v49, 0, v56, v49
	;; [unrolled: 1-line block ×4, first 2 shown]
	v_mul_f32_e32 v4, v10, v15
	v_mul_f32_e32 v53, v11, v21
	;; [unrolled: 1-line block ×4, first 2 shown]
	v_fmac_f32_e32 v4, v35, v14
	v_fmac_f32_e32 v53, v36, v20
	;; [unrolled: 1-line block ×4, first 2 shown]
	v_mul_f32_e32 v56, v46, v25
	v_sub_f32_e32 v57, v37, v4
	v_sub_f32_e32 v53, v38, v53
	;; [unrolled: 1-line block ×4, first 2 shown]
	v_fmac_f32_e32 v56, v43, v24
	v_fma_f32 v37, v37, 2.0, -v57
	v_fma_f32 v38, v38, 2.0, -v53
	;; [unrolled: 1-line block ×4, first 2 shown]
	v_sub_f32_e32 v4, v44, v56
	ds_write2_b32 v49, v37, v57 offset1:13
	ds_write2_b32 v50, v38, v53 offset1:13
	;; [unrolled: 1-line block ×4, first 2 shown]
	s_and_saveexec_b32 s0, s1
	s_cbranch_execz .LBB0_21
; %bb.20:
	v_lshlrev_b32_sdwa v37, v8, v47 dst_sel:DWORD dst_unused:UNUSED_PAD src0_sel:DWORD src1_sel:WORD_0
	v_lshlrev_b32_sdwa v8, v8, v48 dst_sel:DWORD dst_unused:UNUSED_PAD src0_sel:DWORD src1_sel:WORD_0
	v_fma_f32 v38, v44, 2.0, -v4
	v_add3_u32 v8, 0, v37, v8
	ds_write2_b32 v8, v38, v4 offset1:13
.LBB0_21:
	s_or_b32 exec_lo, exec_lo, s0
	v_mul_f32_e32 v8, v35, v15
	v_mul_f32_e32 v15, v36, v21
	;; [unrolled: 1-line block ×3, first 2 shown]
	v_add_nc_u32_e32 v33, 0x500, v42
	v_mul_f32_e32 v37, v34, v27
	v_add_nc_u32_e32 v34, 0x1000, v42
	v_add_nc_u32_e32 v27, 0xb00, v42
	v_fma_f32 v8, v10, v14, -v8
	v_fma_f32 v35, v11, v20, -v15
	;; [unrolled: 1-line block ×3, first 2 shown]
	s_waitcnt lgkmcnt(0)
	s_barrier
	buffer_gl0_inv
	ds_read2_b32 v[14:15], v42 offset1:182
	ds_read2_b32 v[10:11], v33 offset0:44 offset1:226
	ds_read2_b32 v[22:23], v34 offset0:68 offset1:250
	;; [unrolled: 1-line block ×3, first 2 shown]
	ds_read_b32 v18, v42 offset:5824
	v_mul_f32_e32 v25, v43, v25
	v_fma_f32 v19, v19, v26, -v37
	v_sub_f32_e32 v26, v12, v8
	v_sub_f32_e32 v35, v13, v35
	v_sub_f32_e32 v36, v16, v36
	v_fma_f32 v8, v46, v24, -v25
	v_sub_f32_e32 v19, v17, v19
	v_fma_f32 v12, v12, 2.0, -v26
	v_fma_f32 v13, v13, 2.0, -v35
	;; [unrolled: 1-line block ×3, first 2 shown]
	v_sub_f32_e32 v8, v45, v8
	v_fma_f32 v17, v17, 2.0, -v19
	s_waitcnt lgkmcnt(0)
	s_barrier
	buffer_gl0_inv
	ds_write2_b32 v49, v12, v26 offset1:13
	ds_write2_b32 v50, v13, v35 offset1:13
	;; [unrolled: 1-line block ×4, first 2 shown]
	s_and_saveexec_b32 s0, s1
	s_cbranch_execz .LBB0_23
; %bb.22:
	v_mov_b32_e32 v12, 2
	v_fma_f32 v16, v45, 2.0, -v8
	v_lshlrev_b32_sdwa v13, v12, v47 dst_sel:DWORD dst_unused:UNUSED_PAD src0_sel:DWORD src1_sel:WORD_0
	v_lshlrev_b32_sdwa v12, v12, v48 dst_sel:DWORD dst_unused:UNUSED_PAD src0_sel:DWORD src1_sel:WORD_0
	v_add3_u32 v12, 0, v13, v12
	ds_write2_b32 v12, v16, v8 offset1:13
.LBB0_23:
	s_or_b32 exec_lo, exec_lo, s0
	v_mov_b32_e32 v12, 0x4ec5
	v_lshrrev_b16 v19, 11, v32
	v_mov_b32_e32 v17, 4
	s_waitcnt lgkmcnt(0)
	s_barrier
	v_mul_u32_u24_sdwa v13, v28, v12 dst_sel:DWORD dst_unused:UNUSED_PAD src0_sel:WORD_0 src1_sel:DWORD
	v_mul_u32_u24_sdwa v12, v29, v12 dst_sel:DWORD dst_unused:UNUSED_PAD src0_sel:WORD_0 src1_sel:DWORD
	v_mul_lo_u16 v16, v19, 26
	buffer_gl0_inv
	v_mov_b32_e32 v45, 2
	v_lshrrev_b32_e32 v35, 19, v13
	v_lshrrev_b32_e32 v36, 19, v12
	v_sub_nc_u16 v32, v41, v16
	v_cmp_gt_u32_e64 s0, 52, v41
	v_mul_lo_u16 v12, v35, 26
	v_mul_lo_u16 v16, v36, 26
	v_lshlrev_b32_sdwa v13, v17, v32 dst_sel:DWORD dst_unused:UNUSED_PAD src0_sel:DWORD src1_sel:BYTE_0
	v_mul_u32_u24_e32 v35, 0x138, v35
	v_mul_u32_u24_e32 v36, 0x138, v36
	v_sub_nc_u16 v43, v28, v12
	v_sub_nc_u16 v44, v29, v16
	global_load_dwordx4 v[37:40], v13, s[8:9] offset:104
	v_lshlrev_b32_sdwa v12, v17, v43 dst_sel:DWORD dst_unused:UNUSED_PAD src0_sel:DWORD src1_sel:WORD_0
	v_lshlrev_b32_sdwa v13, v17, v44 dst_sel:DWORD dst_unused:UNUSED_PAD src0_sel:DWORD src1_sel:WORD_0
	s_clause 0x1
	global_load_dwordx4 v[47:50], v12, s[8:9] offset:104
	global_load_dwordx4 v[51:54], v13, s[8:9] offset:104
	ds_read2_b32 v[12:13], v33 offset0:44 offset1:226
	ds_read2_b32 v[16:17], v34 offset0:68 offset1:250
	v_mov_b32_e32 v33, 0x138
	ds_read2_b32 v[24:25], v42 offset1:182
	ds_read2_b32 v[26:27], v27 offset0:24 offset1:206
	ds_read_b32 v55, v42 offset:5824
	v_lshlrev_b32_sdwa v34, v45, v32 dst_sel:DWORD dst_unused:UNUSED_PAD src0_sel:DWORD src1_sel:BYTE_0
	v_add_nc_u32_e32 v32, 0x700, v42
	s_waitcnt vmcnt(0) lgkmcnt(0)
	v_mul_u32_u24_sdwa v19, v19, v33 dst_sel:DWORD dst_unused:UNUSED_PAD src0_sel:WORD_0 src1_sel:DWORD
	s_barrier
	buffer_gl0_inv
	v_add_nc_u32_e32 v33, 0xe80, v42
	v_add3_u32 v34, 0, v19, v34
	v_lshlrev_b32_sdwa v19, v45, v43 dst_sel:DWORD dst_unused:UNUSED_PAD src0_sel:DWORD src1_sel:WORD_0
	v_lshlrev_b32_sdwa v45, v45, v44 dst_sel:DWORD dst_unused:UNUSED_PAD src0_sel:DWORD src1_sel:WORD_0
	v_add3_u32 v35, 0, v35, v19
	v_add3_u32 v36, 0, v36, v45
	v_mul_f32_e32 v43, v13, v38
	v_mul_f32_e32 v19, v11, v38
	v_mul_f32_e32 v44, v16, v40
	v_mul_f32_e32 v38, v22, v40
	v_fmac_f32_e32 v43, v11, v37
	v_fma_f32 v46, v13, v37, -v19
	v_fmac_f32_e32 v44, v22, v39
	v_mul_f32_e32 v11, v26, v48
	v_mul_f32_e32 v37, v17, v50
	v_fma_f32 v39, v16, v39, -v38
	v_mul_f32_e32 v22, v27, v52
	v_mul_f32_e32 v38, v55, v54
	;; [unrolled: 1-line block ×4, first 2 shown]
	v_add_f32_e32 v45, v43, v44
	v_fmac_f32_e32 v11, v20, v47
	v_fmac_f32_e32 v37, v23, v49
	v_mul_f32_e32 v19, v21, v52
	v_mul_f32_e32 v40, v18, v54
	v_fmac_f32_e32 v22, v21, v51
	v_fmac_f32_e32 v38, v18, v53
	v_add_f32_e32 v48, v14, v43
	v_sub_f32_e32 v50, v46, v39
	v_fma_f32 v47, v26, v47, -v13
	v_fma_f32 v23, v17, v49, -v16
	v_fma_f32 v14, -0.5, v45, v14
	v_add_f32_e32 v18, v11, v37
	v_fma_f32 v45, v27, v51, -v19
	v_fma_f32 v40, v55, v53, -v40
	v_add_f32_e32 v20, v22, v38
	v_add_f32_e32 v13, v48, v44
	v_fmamk_f32 v16, v50, 0xbf5db3d7, v14
	v_add_f32_e32 v17, v15, v11
	v_sub_f32_e32 v19, v47, v23
	v_fmac_f32_e32 v15, -0.5, v18
	v_add_f32_e32 v21, v10, v22
	v_sub_f32_e32 v26, v45, v40
	v_fmac_f32_e32 v10, -0.5, v20
	v_fmac_f32_e32 v14, 0x3f5db3d7, v50
	v_add_f32_e32 v17, v17, v37
	ds_write2_b32 v34, v13, v16 offset1:26
	v_fmamk_f32 v16, v19, 0xbf5db3d7, v15
	v_fmac_f32_e32 v15, 0x3f5db3d7, v19
	v_add_f32_e32 v18, v21, v38
	v_fmamk_f32 v13, v26, 0xbf5db3d7, v10
	v_fmac_f32_e32 v10, 0x3f5db3d7, v26
	ds_write_b32 v34, v14 offset:208
	ds_write2_b32 v35, v17, v16 offset1:26
	ds_write_b32 v35, v15 offset:208
	ds_write2_b32 v36, v18, v13 offset1:26
	ds_write_b32 v36, v10 offset:208
	s_waitcnt lgkmcnt(0)
	s_barrier
	buffer_gl0_inv
	ds_read2_b32 v[16:17], v42 offset1:234
	ds_read2_b32 v[20:21], v32 offset0:20 offset1:254
	ds_read2_b32 v[18:19], v33 offset0:8 offset1:242
	ds_read_b32 v27, v42 offset:5616
                                        ; implicit-def: $vgpr26
	s_and_saveexec_b32 s1, s0
	s_cbranch_execz .LBB0_25
; %bb.24:
	v_add_nc_u32_e32 v2, 0x2c0, v42
	v_add_nc_u32_e32 v3, 0xa00, v42
	;; [unrolled: 1-line block ×3, first 2 shown]
	ds_read2_b32 v[13:14], v2 offset0:6 offset1:240
	ds_read2_b32 v[4:5], v3 offset0:10 offset1:244
	;; [unrolled: 1-line block ×3, first 2 shown]
	ds_read_b32 v26, v42 offset:6344
	s_waitcnt lgkmcnt(3)
	v_mov_b32_e32 v10, v14
.LBB0_25:
	s_or_b32 exec_lo, exec_lo, s1
	v_add_f32_e32 v14, v46, v39
	v_sub_f32_e32 v43, v43, v44
	v_add_f32_e32 v44, v47, v23
	v_add_f32_e32 v15, v24, v46
	;; [unrolled: 1-line block ×3, first 2 shown]
	v_fma_f32 v14, -0.5, v14, v24
	v_add_f32_e32 v24, v25, v47
	v_fmac_f32_e32 v25, -0.5, v44
	v_sub_f32_e32 v11, v11, v37
	v_add_f32_e32 v37, v12, v45
	v_fmac_f32_e32 v12, -0.5, v46
	v_sub_f32_e32 v22, v22, v38
	v_add_f32_e32 v15, v15, v39
	v_fmamk_f32 v39, v43, 0x3f5db3d7, v14
	v_fmac_f32_e32 v14, 0xbf5db3d7, v43
	v_add_f32_e32 v23, v24, v23
	v_fmamk_f32 v24, v11, 0x3f5db3d7, v25
	v_fmac_f32_e32 v25, 0xbf5db3d7, v11
	;; [unrolled: 3-line block ×3, first 2 shown]
	s_waitcnt lgkmcnt(0)
	s_barrier
	buffer_gl0_inv
	ds_write2_b32 v34, v15, v39 offset1:26
	ds_write_b32 v34, v14 offset:208
	ds_write2_b32 v35, v23, v24 offset1:26
	ds_write_b32 v35, v25 offset:208
	;; [unrolled: 2-line block ×3, first 2 shown]
	s_waitcnt lgkmcnt(0)
	s_barrier
	buffer_gl0_inv
	ds_read2_b32 v[14:15], v42 offset1:234
	ds_read2_b32 v[24:25], v32 offset0:20 offset1:254
	ds_read2_b32 v[22:23], v33 offset0:8 offset1:242
	ds_read_b32 v44, v42 offset:5616
                                        ; implicit-def: $vgpr33
	s_and_saveexec_b32 s1, s0
	s_cbranch_execz .LBB0_27
; %bb.26:
	v_add_nc_u32_e32 v6, 0x2c0, v42
	v_add_nc_u32_e32 v7, 0xa00, v42
	;; [unrolled: 1-line block ×3, first 2 shown]
	ds_read2_b32 v[11:12], v6 offset0:6 offset1:240
	ds_read2_b32 v[8:9], v7 offset0:10 offset1:244
	;; [unrolled: 1-line block ×3, first 2 shown]
	ds_read_b32 v33, v42 offset:6344
.LBB0_27:
	s_or_b32 exec_lo, exec_lo, s1
	v_lshrrev_b16 v32, 1, v41
	v_lshrrev_b16 v34, 1, v28
	v_mov_b32_e32 v35, 0x6907
	v_mov_b32_e32 v36, 6
	v_and_b32_e32 v32, 0x7f, v32
	v_mul_u32_u24_sdwa v34, v34, v35 dst_sel:DWORD dst_unused:UNUSED_PAD src0_sel:WORD_0 src1_sel:DWORD
	v_mul_lo_u16 v32, 0xd3, v32
	v_lshrrev_b32_e32 v34, 20, v34
	v_lshrrev_b16 v32, 13, v32
	v_mul_lo_u16 v34, 0x4e, v34
	v_mul_lo_u16 v35, 0x4e, v32
	v_sub_nc_u16 v34, v28, v34
	v_sub_nc_u16 v35, v41, v35
	v_and_b32_e32 v37, 0xffff, v34
	v_mul_u32_u24_sdwa v36, v35, v36 dst_sel:DWORD dst_unused:UNUSED_PAD src0_sel:BYTE_0 src1_sel:DWORD
	v_mul_u32_u24_e32 v34, 6, v37
	v_lshlrev_b32_e32 v36, 3, v36
	v_lshlrev_b32_e32 v34, 3, v34
	s_clause 0x5
	global_load_dwordx4 v[51:54], v36, s[8:9] offset:520
	global_load_dwordx4 v[55:58], v36, s[8:9] offset:536
	;; [unrolled: 1-line block ×6, first 2 shown]
	v_mov_b32_e32 v34, 0x888
	v_mov_b32_e32 v36, 2
	s_waitcnt vmcnt(0) lgkmcnt(0)
	s_barrier
	buffer_gl0_inv
	v_mul_u32_u24_sdwa v32, v32, v34 dst_sel:DWORD dst_unused:UNUSED_PAD src0_sel:WORD_0 src1_sel:DWORD
	v_lshlrev_b32_sdwa v34, v36, v35 dst_sel:DWORD dst_unused:UNUSED_PAD src0_sel:DWORD src1_sel:BYTE_0
	v_add3_u32 v34, 0, v32, v34
	v_lshl_add_u32 v32, v37, 2, 0
	v_add_nc_u32_e32 v35, 0x400, v34
	v_mul_f32_e32 v49, v23, v60
	v_mul_f32_e32 v46, v15, v52
	;; [unrolled: 1-line block ×12, first 2 shown]
	v_fmac_f32_e32 v46, v17, v51
	v_fmac_f32_e32 v45, v20, v53
	;; [unrolled: 1-line block ×4, first 2 shown]
	v_mul_f32_e32 v52, v17, v52
	v_mul_f32_e32 v62, v27, v62
	;; [unrolled: 1-line block ×10, first 2 shown]
	v_fma_f32 v24, v24, v53, -v54
	v_fmac_f32_e32 v47, v21, v55
	v_fma_f32 v20, v25, v55, -v56
	v_fmac_f32_e32 v48, v18, v57
	v_fma_f32 v21, v22, v57, -v58
	v_fma_f32 v22, v23, v59, -v60
	v_fmac_f32_e32 v39, v2, v69
	v_fmac_f32_e32 v40, v3, v71
	v_add_f32_e32 v2, v46, v50
	v_add_f32_e32 v3, v45, v49
	v_fma_f32 v51, v15, v51, -v52
	v_fma_f32 v23, v44, v61, -v62
	;; [unrolled: 1-line block ×4, first 2 shown]
	v_fmac_f32_e32 v38, v5, v67
	v_fma_f32 v12, v9, v67, -v68
	v_fma_f32 v18, v6, v69, -v70
	v_add_f32_e32 v5, v47, v48
	v_sub_f32_e32 v6, v24, v22
	v_sub_f32_e32 v8, v21, v20
	v_add_f32_e32 v9, v3, v2
	v_fmac_f32_e32 v36, v4, v65
	v_sub_f32_e32 v4, v51, v23
	v_fmac_f32_e32 v37, v10, v63
	v_sub_f32_e32 v10, v3, v2
	v_sub_f32_e32 v2, v2, v5
	;; [unrolled: 1-line block ×3, first 2 shown]
	v_add_f32_e32 v19, v8, v6
	v_sub_f32_e32 v25, v8, v6
	v_add_f32_e32 v5, v5, v9
	v_sub_f32_e32 v6, v6, v4
	v_sub_f32_e32 v8, v4, v8
	v_add_f32_e32 v4, v19, v4
	v_mul_f32_e32 v2, 0x3f4a47b2, v2
	v_mul_f32_e32 v19, 0x3f08b237, v25
	v_add_f32_e32 v27, v16, v5
	v_mul_f32_e32 v9, 0x3d64c772, v3
	v_mul_f32_e32 v25, 0xbf5ff5aa, v6
	v_fmamk_f32 v3, v3, 0x3d64c772, v2
	v_fmamk_f32 v44, v8, 0xbeae86e6, v19
	;; [unrolled: 1-line block ×3, first 2 shown]
	v_fma_f32 v9, 0x3f3bfb3b, v10, -v9
	v_fma_f32 v6, 0xbf5ff5aa, v6, -v19
	;; [unrolled: 1-line block ×4, first 2 shown]
	v_mul_f32_e32 v43, v33, v74
	v_mul_f32_e32 v74, v26, v74
	v_fmac_f32_e32 v44, 0xbee1c552, v4
	v_add_f32_e32 v3, v3, v5
	v_fmac_f32_e32 v6, 0xbee1c552, v4
	v_fmac_f32_e32 v8, 0xbee1c552, v4
	v_add_f32_e32 v2, v2, v5
	v_add_f32_e32 v4, v9, v5
	v_fma_f32 v16, v7, v71, -v72
	v_fmac_f32_e32 v43, v26, v73
	v_add_f32_e32 v5, v44, v3
	v_fma_f32 v19, v33, v73, -v74
	v_add_f32_e32 v7, v8, v2
	v_sub_f32_e32 v9, v4, v6
	v_add_f32_e32 v4, v6, v4
	v_sub_f32_e32 v2, v2, v8
	v_sub_f32_e32 v3, v3, v44
	ds_write2_b32 v34, v27, v5 offset1:78
	ds_write2_b32 v34, v7, v9 offset0:156 offset1:234
	ds_write2_b32 v35, v4, v2 offset0:56 offset1:134
	ds_write_b32 v34, v3 offset:1872
	s_and_saveexec_b32 s1, s0
	s_cbranch_execz .LBB0_29
; %bb.28:
	v_add_f32_e32 v2, v37, v43
	v_add_f32_e32 v4, v36, v40
	;; [unrolled: 1-line block ×3, first 2 shown]
	v_sub_f32_e32 v5, v18, v12
	v_sub_f32_e32 v8, v17, v16
	;; [unrolled: 1-line block ×3, first 2 shown]
	v_add_f32_e32 v7, v4, v2
	v_sub_f32_e32 v6, v2, v3
	v_sub_f32_e32 v10, v3, v4
	;; [unrolled: 1-line block ×4, first 2 shown]
	v_add_f32_e32 v3, v3, v7
	v_sub_f32_e32 v7, v5, v8
	v_mul_f32_e32 v6, 0x3f4a47b2, v6
	v_mul_f32_e32 v26, 0x3d64c772, v10
	v_sub_f32_e32 v27, v9, v5
	v_add_f32_e32 v13, v13, v3
	v_add_f32_e32 v5, v5, v8
	v_mul_f32_e32 v4, 0xbf5ff5aa, v25
	v_mul_f32_e32 v7, 0x3f08b237, v7
	v_fmamk_f32 v10, v10, 0x3d64c772, v6
	v_fmamk_f32 v3, v3, 0xbf955555, v13
	v_add_f32_e32 v5, v5, v9
	v_fma_f32 v6, 0xbf3bfb3b, v2, -v6
	v_fma_f32 v4, 0x3eae86e6, v27, -v4
	;; [unrolled: 1-line block ×4, first 2 shown]
	v_fmamk_f32 v7, v27, 0xbeae86e6, v7
	v_add_f32_e32 v6, v6, v3
	v_fmac_f32_e32 v4, 0xbee1c552, v5
	v_fmac_f32_e32 v8, 0xbee1c552, v5
	v_add_f32_e32 v2, v2, v3
	v_add_f32_e32 v3, v10, v3
	v_fmac_f32_e32 v7, 0xbee1c552, v5
	v_sub_f32_e32 v5, v6, v4
	v_add_f32_e32 v4, v4, v6
	v_add_f32_e32 v9, v8, v2
	v_sub_f32_e32 v2, v2, v8
	v_add_f32_e32 v6, v7, v3
	v_add_nc_u32_e32 v8, 0x1000, v32
	v_add_nc_u32_e32 v10, 0x1200, v32
	;; [unrolled: 1-line block ×3, first 2 shown]
	v_sub_f32_e32 v3, v3, v7
	ds_write2_b32 v8, v13, v6 offset0:68 offset1:146
	ds_write2_b32 v10, v4, v2 offset0:96 offset1:174
	;; [unrolled: 1-line block ×3, first 2 shown]
	ds_write_b32 v32, v3 offset:6240
.LBB0_29:
	s_or_b32 exec_lo, exec_lo, s1
	v_add_f32_e32 v2, v51, v23
	v_add_f32_e32 v3, v24, v22
	;; [unrolled: 1-line block ×3, first 2 shown]
	v_sub_f32_e32 v6, v45, v49
	v_sub_f32_e32 v7, v48, v47
	;; [unrolled: 1-line block ×3, first 2 shown]
	v_add_f32_e32 v8, v3, v2
	v_sub_f32_e32 v9, v3, v2
	v_sub_f32_e32 v2, v2, v5
	;; [unrolled: 1-line block ×3, first 2 shown]
	v_add_f32_e32 v10, v7, v6
	v_add_f32_e32 v5, v5, v8
	v_sub_f32_e32 v8, v7, v6
	v_sub_f32_e32 v7, v4, v7
	v_sub_f32_e32 v6, v6, v4
	v_add_f32_e32 v13, v10, v4
	v_add_f32_e32 v14, v14, v5
	v_mul_f32_e32 v4, 0x3d64c772, v3
	v_mul_f32_e32 v2, 0x3f4a47b2, v2
	;; [unrolled: 1-line block ×4, first 2 shown]
	v_fmamk_f32 v20, v5, 0xbf955555, v14
	v_fma_f32 v4, 0x3f3bfb3b, v9, -v4
	v_fmamk_f32 v3, v3, 0x3d64c772, v2
	v_fma_f32 v23, 0xbf5ff5aa, v6, -v8
	v_add_nc_u32_e32 v6, 0x1000, v42
	v_fmamk_f32 v22, v7, 0xbeae86e6, v8
	v_add_f32_e32 v26, v4, v20
	v_add_nc_u32_e32 v4, 0x500, v42
	v_add_nc_u32_e32 v8, 0xb00, v42
	v_fma_f32 v21, 0xbf3bfb3b, v9, -v2
	v_fma_f32 v24, 0x3eae86e6, v7, -v10
	v_add_f32_e32 v25, v3, v20
	s_waitcnt lgkmcnt(0)
	s_barrier
	buffer_gl0_inv
	ds_read2_b32 v[2:3], v42 offset1:182
	ds_read2_b32 v[4:5], v4 offset0:44 offset1:226
	ds_read2_b32 v[6:7], v6 offset0:68 offset1:250
	;; [unrolled: 1-line block ×3, first 2 shown]
	ds_read_b32 v10, v42 offset:5824
	v_fmac_f32_e32 v22, 0xbee1c552, v13
	v_add_f32_e32 v20, v21, v20
	v_fmac_f32_e32 v24, 0xbee1c552, v13
	v_fmac_f32_e32 v23, 0xbee1c552, v13
	s_waitcnt lgkmcnt(0)
	v_sub_f32_e32 v13, v25, v22
	v_add_f32_e32 v22, v22, v25
	v_sub_f32_e32 v21, v20, v24
	v_add_f32_e32 v27, v23, v26
	;; [unrolled: 2-line block ×3, first 2 shown]
	s_barrier
	buffer_gl0_inv
	ds_write2_b32 v34, v14, v13 offset1:78
	ds_write2_b32 v34, v21, v27 offset0:156 offset1:234
	ds_write2_b32 v35, v23, v20 offset0:56 offset1:134
	ds_write_b32 v34, v22 offset:1872
	s_and_saveexec_b32 s1, s0
	s_cbranch_execz .LBB0_31
; %bb.30:
	v_add_f32_e32 v13, v15, v19
	v_add_f32_e32 v14, v17, v16
	v_sub_f32_e32 v15, v37, v43
	v_add_f32_e32 v12, v12, v18
	v_sub_f32_e32 v16, v36, v40
	v_sub_f32_e32 v17, v39, v38
	v_add_f32_e32 v18, v14, v13
	v_sub_f32_e32 v19, v14, v13
	v_sub_f32_e32 v13, v13, v12
	;; [unrolled: 1-line block ×3, first 2 shown]
	v_add_f32_e32 v20, v17, v16
	v_add_f32_e32 v12, v12, v18
	v_sub_f32_e32 v18, v17, v16
	v_sub_f32_e32 v16, v16, v15
	;; [unrolled: 1-line block ×3, first 2 shown]
	v_add_f32_e32 v15, v20, v15
	v_add_f32_e32 v11, v11, v12
	v_mul_f32_e32 v13, 0x3f4a47b2, v13
	v_mul_f32_e32 v20, 0x3d64c772, v14
	;; [unrolled: 1-line block ×4, first 2 shown]
	v_fmamk_f32 v12, v12, 0xbf955555, v11
	v_fmamk_f32 v14, v14, 0x3d64c772, v13
	v_fma_f32 v20, 0x3f3bfb3b, v19, -v20
	v_fma_f32 v13, 0xbf3bfb3b, v19, -v13
	v_fmamk_f32 v19, v17, 0xbeae86e6, v18
	v_fma_f32 v17, 0x3eae86e6, v17, -v21
	v_fma_f32 v16, 0xbf5ff5aa, v16, -v18
	v_add_f32_e32 v14, v14, v12
	v_add_f32_e32 v18, v20, v12
	;; [unrolled: 1-line block ×3, first 2 shown]
	v_fmac_f32_e32 v19, 0xbee1c552, v15
	v_fmac_f32_e32 v17, 0xbee1c552, v15
	;; [unrolled: 1-line block ×3, first 2 shown]
	v_add_nc_u32_e32 v21, 0x1400, v32
	v_sub_f32_e32 v13, v14, v19
	v_sub_f32_e32 v15, v12, v17
	v_add_f32_e32 v12, v17, v12
	v_add_nc_u32_e32 v17, 0x1000, v32
	v_add_f32_e32 v20, v16, v18
	v_sub_f32_e32 v16, v18, v16
	v_add_nc_u32_e32 v18, 0x1200, v32
	v_add_f32_e32 v14, v19, v14
	ds_write2_b32 v17, v11, v13 offset0:68 offset1:146
	ds_write2_b32 v18, v15, v20 offset0:96 offset1:174
	;; [unrolled: 1-line block ×3, first 2 shown]
	ds_write_b32 v32, v14 offset:6240
.LBB0_31:
	s_or_b32 exec_lo, exec_lo, s1
	s_waitcnt lgkmcnt(0)
	s_barrier
	buffer_gl0_inv
	s_and_saveexec_b32 s0, vcc_lo
	s_cbranch_execz .LBB0_33
; %bb.32:
	v_lshlrev_b32_e32 v15, 1, v29
	v_mov_b32_e32 v16, 0
	v_mad_u64_u32 v[32:33], null, s2, v28, 0
	v_add_nc_u32_e32 v50, 0x444, v41
	v_add_nc_u32_e32 v27, 0x500, v42
	v_lshlrev_b64 v[11:12], 3, v[15:16]
	v_lshlrev_b32_e32 v15, 1, v28
	v_add_nc_u32_e32 v51, 0x4fa, v41
	v_add_nc_u32_e32 v38, 0xb00, v42
	;; [unrolled: 1-line block ×3, first 2 shown]
	v_mad_u64_u32 v[25:26], null, s2, v41, 0
	v_add_co_u32 v11, vcc_lo, s8, v11
	v_add_co_ci_u32_e32 v12, vcc_lo, s9, v12, vcc_lo
	v_lshlrev_b64 v[17:18], 3, v[15:16]
	v_add_co_u32 v11, vcc_lo, 0x1000, v11
	v_lshlrev_b32_e32 v15, 1, v41
	v_add_co_ci_u32_e32 v12, vcc_lo, 0, v12, vcc_lo
	v_add_co_u32 v17, vcc_lo, s8, v17
	v_add_co_ci_u32_e32 v18, vcc_lo, s9, v18, vcc_lo
	v_lshlrev_b64 v[19:20], 3, v[15:16]
	v_add_co_u32 v17, vcc_lo, 0x1000, v17
	v_add_co_ci_u32_e32 v18, vcc_lo, 0, v18, vcc_lo
	global_load_dwordx4 v[11:14], v[11:12], off offset:168
	v_add_co_u32 v19, vcc_lo, s8, v19
	global_load_dwordx4 v[15:18], v[17:18], off offset:168
	v_add_co_ci_u32_e32 v20, vcc_lo, s9, v20, vcc_lo
	v_add_co_u32 v19, vcc_lo, 0x1000, v19
	v_mad_u64_u32 v[44:45], null, s2, v50, 0
	v_add_co_ci_u32_e32 v20, vcc_lo, 0, v20, vcc_lo
	v_add_co_u32 v53, vcc_lo, s12, v0
	v_add_co_ci_u32_e32 v54, vcc_lo, s13, v1, vcc_lo
	global_load_dwordx4 v[19:22], v[19:20], off offset:168
	v_mad_u64_u32 v[0:1], null, s2, v31, 0
	ds_read_b32 v52, v42 offset:5824
	ds_read2_b32 v[23:24], v42 offset1:182
	ds_read2_b32 v[36:37], v27 offset0:44 offset1:226
	ds_read2_b32 v[38:39], v38 offset0:24 offset1:206
	;; [unrolled: 1-line block ×3, first 2 shown]
	v_mad_u64_u32 v[46:47], null, s2, v51, 0
	v_mov_b32_e32 v27, v33
	v_lshrrev_b32_e32 v48, 1, v29
	v_mad_u64_u32 v[34:35], null, s2, v30, 0
	v_mad_u64_u32 v[40:41], null, s3, v41, v[26:27]
	;; [unrolled: 1-line block ×3, first 2 shown]
	v_mul_hi_u32 v55, 0xf00f00f1, v48
	v_mad_u64_u32 v[48:49], null, s3, v31, v[1:2]
	v_mov_b32_e32 v1, v45
	v_mov_b32_e32 v26, v47
	;; [unrolled: 1-line block ×3, first 2 shown]
	v_mad_u64_u32 v[49:50], null, s3, v50, v[1:2]
	v_mad_u64_u32 v[50:51], null, s3, v51, v[26:27]
	v_mov_b32_e32 v26, v40
	v_lshrrev_b32_e32 v28, 8, v55
	v_mad_u64_u32 v[30:31], null, s3, v30, v[33:34]
	v_mov_b32_e32 v1, v48
	v_lshlrev_b64 v[25:26], 3, v[25:26]
	v_mad_u32_u24 v51, 0x444, v28, v29
	v_mov_b32_e32 v33, v27
	v_mov_b32_e32 v45, v49
	v_lshlrev_b64 v[0:1], 3, v[0:1]
	v_mov_b32_e32 v35, v30
	v_add_nc_u32_e32 v55, 0x222, v51
	v_lshlrev_b64 v[29:30], 3, v[32:33]
	v_add_co_u32 v25, vcc_lo, v53, v25
	v_add_nc_u32_e32 v56, 0x444, v51
	v_add_co_ci_u32_e32 v26, vcc_lo, v54, v26, vcc_lo
	v_mad_u64_u32 v[27:28], null, s2, v51, 0
	v_add_co_u32 v0, vcc_lo, v53, v0
	v_lshlrev_b64 v[31:32], 3, v[34:35]
	v_mad_u64_u32 v[33:34], null, s2, v55, 0
	v_add_co_ci_u32_e32 v1, vcc_lo, v54, v1, vcc_lo
	v_mad_u64_u32 v[40:41], null, s2, v56, 0
	v_add_co_u32 v29, vcc_lo, v53, v29
	v_mov_b32_e32 v47, v50
	v_lshlrev_b64 v[44:45], 3, v[44:45]
	v_add_co_ci_u32_e32 v30, vcc_lo, v54, v30, vcc_lo
	v_mad_u64_u32 v[48:49], null, s3, v51, v[28:29]
	v_mov_b32_e32 v28, v34
	v_mov_b32_e32 v34, v41
	v_lshlrev_b64 v[46:47], 3, v[46:47]
	v_add_co_u32 v31, vcc_lo, v53, v31
	v_mad_u64_u32 v[49:50], null, s3, v55, v[28:29]
	v_mad_u64_u32 v[50:51], null, s3, v56, v[34:35]
	v_mov_b32_e32 v28, v48
	v_add_co_ci_u32_e32 v32, vcc_lo, v54, v32, vcc_lo
	v_add_co_u32 v44, vcc_lo, v53, v44
	v_mov_b32_e32 v34, v49
	v_lshlrev_b64 v[27:28], 3, v[27:28]
	v_mov_b32_e32 v41, v50
	v_add_co_ci_u32_e32 v45, vcc_lo, v54, v45, vcc_lo
	v_add_co_u32 v46, vcc_lo, v53, v46
	v_lshlrev_b64 v[33:34], 3, v[33:34]
	v_add_co_ci_u32_e32 v47, vcc_lo, v54, v47, vcc_lo
	v_lshlrev_b64 v[40:41], 3, v[40:41]
	v_add_co_u32 v27, vcc_lo, v53, v27
	v_add_co_ci_u32_e32 v28, vcc_lo, v54, v28, vcc_lo
	v_add_co_u32 v33, vcc_lo, v53, v33
	v_add_co_ci_u32_e32 v34, vcc_lo, v54, v34, vcc_lo
	;; [unrolled: 2-line block ×3, first 2 shown]
	s_waitcnt vmcnt(2)
	v_mul_f32_e32 v35, v9, v12
	v_mul_f32_e32 v48, v10, v14
	s_waitcnt lgkmcnt(1)
	v_mul_f32_e32 v12, v39, v12
	v_mul_f32_e32 v14, v52, v14
	v_fma_f32 v35, v39, v11, -v35
	v_fma_f32 v39, v52, v13, -v48
	v_fmac_f32_e32 v12, v9, v11
	v_fmac_f32_e32 v14, v10, v13
	s_waitcnt vmcnt(1)
	v_mul_f32_e32 v9, v8, v16
	v_mul_f32_e32 v10, v7, v18
	;; [unrolled: 1-line block ×3, first 2 shown]
	s_waitcnt lgkmcnt(0)
	v_mul_f32_e32 v13, v43, v18
	v_add_f32_e32 v16, v35, v39
	v_sub_f32_e32 v18, v12, v14
	v_add_f32_e32 v48, v12, v14
	v_add_f32_e32 v12, v4, v12
	v_fma_f32 v38, v38, v15, -v9
	v_fma_f32 v43, v43, v17, -v10
	v_fmac_f32_e32 v11, v8, v15
	v_fmac_f32_e32 v13, v7, v17
	s_waitcnt vmcnt(0)
	v_mul_f32_e32 v15, v5, v20
	v_mul_f32_e32 v17, v6, v22
	;; [unrolled: 1-line block ×4, first 2 shown]
	v_sub_f32_e32 v49, v35, v39
	v_add_f32_e32 v35, v36, v35
	v_fma_f32 v8, -0.5, v16, v36
	v_add_f32_e32 v9, v12, v14
	v_add_f32_e32 v14, v11, v13
	;; [unrolled: 1-line block ×3, first 2 shown]
	v_fma_f32 v15, v37, v19, -v15
	v_fma_f32 v17, v42, v21, -v17
	v_fmac_f32_e32 v20, v5, v19
	v_fmac_f32_e32 v22, v6, v21
	v_add_f32_e32 v10, v35, v39
	v_add_f32_e32 v12, v38, v43
	v_sub_f32_e32 v35, v11, v13
	v_sub_f32_e32 v36, v38, v43
	v_add_f32_e32 v38, v3, v11
	v_fma_f32 v11, -0.5, v14, v3
	v_add_f32_e32 v14, v16, v43
	v_add_f32_e32 v3, v15, v17
	v_add_f32_e32 v16, v20, v22
	v_sub_f32_e32 v21, v15, v17
	v_add_f32_e32 v15, v23, v15
	v_add_f32_e32 v19, v2, v20
	v_sub_f32_e32 v6, v20, v22
	v_fma_f32 v3, -0.5, v3, v23
	v_fma_f32 v2, -0.5, v16, v2
	;; [unrolled: 1-line block ×4, first 2 shown]
	v_fmamk_f32 v5, v18, 0xbf5db3d7, v8
	v_fmac_f32_e32 v8, 0x3f5db3d7, v18
	v_add_f32_e32 v18, v15, v17
	v_add_f32_e32 v17, v19, v22
	v_fmamk_f32 v20, v6, 0xbf5db3d7, v3
	v_fmamk_f32 v19, v21, 0x3f5db3d7, v2
	v_fmac_f32_e32 v3, 0x3f5db3d7, v6
	v_fmac_f32_e32 v2, 0xbf5db3d7, v21
	v_add_f32_e32 v13, v38, v13
	v_fmamk_f32 v16, v35, 0xbf5db3d7, v12
	v_fmamk_f32 v15, v36, 0x3f5db3d7, v11
	v_fmac_f32_e32 v12, 0x3f5db3d7, v35
	v_fmac_f32_e32 v11, 0xbf5db3d7, v36
	v_fmamk_f32 v4, v49, 0x3f5db3d7, v7
	v_fmac_f32_e32 v7, 0xbf5db3d7, v49
	global_store_dwordx2 v[25:26], v[17:18], off
	global_store_dwordx2 v[0:1], v[2:3], off
	;; [unrolled: 1-line block ×9, first 2 shown]
.LBB0_33:
	s_endpgm
	.section	.rodata,"a",@progbits
	.p2align	6, 0x0
	.amdhsa_kernel fft_rtc_back_len1638_factors_13_2_3_7_3_wgs_182_tpt_182_halfLds_sp_ip_CI_sbrr_dirReg
		.amdhsa_group_segment_fixed_size 0
		.amdhsa_private_segment_fixed_size 0
		.amdhsa_kernarg_size 88
		.amdhsa_user_sgpr_count 6
		.amdhsa_user_sgpr_private_segment_buffer 1
		.amdhsa_user_sgpr_dispatch_ptr 0
		.amdhsa_user_sgpr_queue_ptr 0
		.amdhsa_user_sgpr_kernarg_segment_ptr 1
		.amdhsa_user_sgpr_dispatch_id 0
		.amdhsa_user_sgpr_flat_scratch_init 0
		.amdhsa_user_sgpr_private_segment_size 0
		.amdhsa_wavefront_size32 1
		.amdhsa_uses_dynamic_stack 0
		.amdhsa_system_sgpr_private_segment_wavefront_offset 0
		.amdhsa_system_sgpr_workgroup_id_x 1
		.amdhsa_system_sgpr_workgroup_id_y 0
		.amdhsa_system_sgpr_workgroup_id_z 0
		.amdhsa_system_sgpr_workgroup_info 0
		.amdhsa_system_vgpr_workitem_id 0
		.amdhsa_next_free_vgpr 100
		.amdhsa_next_free_sgpr 23
		.amdhsa_reserve_vcc 1
		.amdhsa_reserve_flat_scratch 0
		.amdhsa_float_round_mode_32 0
		.amdhsa_float_round_mode_16_64 0
		.amdhsa_float_denorm_mode_32 3
		.amdhsa_float_denorm_mode_16_64 3
		.amdhsa_dx10_clamp 1
		.amdhsa_ieee_mode 1
		.amdhsa_fp16_overflow 0
		.amdhsa_workgroup_processor_mode 1
		.amdhsa_memory_ordered 1
		.amdhsa_forward_progress 0
		.amdhsa_shared_vgpr_count 0
		.amdhsa_exception_fp_ieee_invalid_op 0
		.amdhsa_exception_fp_denorm_src 0
		.amdhsa_exception_fp_ieee_div_zero 0
		.amdhsa_exception_fp_ieee_overflow 0
		.amdhsa_exception_fp_ieee_underflow 0
		.amdhsa_exception_fp_ieee_inexact 0
		.amdhsa_exception_int_div_zero 0
	.end_amdhsa_kernel
	.text
.Lfunc_end0:
	.size	fft_rtc_back_len1638_factors_13_2_3_7_3_wgs_182_tpt_182_halfLds_sp_ip_CI_sbrr_dirReg, .Lfunc_end0-fft_rtc_back_len1638_factors_13_2_3_7_3_wgs_182_tpt_182_halfLds_sp_ip_CI_sbrr_dirReg
                                        ; -- End function
	.section	.AMDGPU.csdata,"",@progbits
; Kernel info:
; codeLenInByte = 10072
; NumSgprs: 25
; NumVgprs: 100
; ScratchSize: 0
; MemoryBound: 0
; FloatMode: 240
; IeeeMode: 1
; LDSByteSize: 0 bytes/workgroup (compile time only)
; SGPRBlocks: 3
; VGPRBlocks: 12
; NumSGPRsForWavesPerEU: 25
; NumVGPRsForWavesPerEU: 100
; Occupancy: 9
; WaveLimiterHint : 1
; COMPUTE_PGM_RSRC2:SCRATCH_EN: 0
; COMPUTE_PGM_RSRC2:USER_SGPR: 6
; COMPUTE_PGM_RSRC2:TRAP_HANDLER: 0
; COMPUTE_PGM_RSRC2:TGID_X_EN: 1
; COMPUTE_PGM_RSRC2:TGID_Y_EN: 0
; COMPUTE_PGM_RSRC2:TGID_Z_EN: 0
; COMPUTE_PGM_RSRC2:TIDIG_COMP_CNT: 0
	.text
	.p2alignl 6, 3214868480
	.fill 48, 4, 3214868480
	.type	__hip_cuid_38dd7a4a987ee47b,@object ; @__hip_cuid_38dd7a4a987ee47b
	.section	.bss,"aw",@nobits
	.globl	__hip_cuid_38dd7a4a987ee47b
__hip_cuid_38dd7a4a987ee47b:
	.byte	0                               ; 0x0
	.size	__hip_cuid_38dd7a4a987ee47b, 1

	.ident	"AMD clang version 19.0.0git (https://github.com/RadeonOpenCompute/llvm-project roc-6.4.0 25133 c7fe45cf4b819c5991fe208aaa96edf142730f1d)"
	.section	".note.GNU-stack","",@progbits
	.addrsig
	.addrsig_sym __hip_cuid_38dd7a4a987ee47b
	.amdgpu_metadata
---
amdhsa.kernels:
  - .args:
      - .actual_access:  read_only
        .address_space:  global
        .offset:         0
        .size:           8
        .value_kind:     global_buffer
      - .offset:         8
        .size:           8
        .value_kind:     by_value
      - .actual_access:  read_only
        .address_space:  global
        .offset:         16
        .size:           8
        .value_kind:     global_buffer
      - .actual_access:  read_only
        .address_space:  global
        .offset:         24
        .size:           8
        .value_kind:     global_buffer
      - .offset:         32
        .size:           8
        .value_kind:     by_value
      - .actual_access:  read_only
        .address_space:  global
        .offset:         40
        .size:           8
        .value_kind:     global_buffer
      - .actual_access:  read_only
        .address_space:  global
        .offset:         48
        .size:           8
        .value_kind:     global_buffer
      - .offset:         56
        .size:           4
        .value_kind:     by_value
      - .actual_access:  read_only
        .address_space:  global
        .offset:         64
        .size:           8
        .value_kind:     global_buffer
      - .actual_access:  read_only
        .address_space:  global
        .offset:         72
        .size:           8
        .value_kind:     global_buffer
      - .address_space:  global
        .offset:         80
        .size:           8
        .value_kind:     global_buffer
    .group_segment_fixed_size: 0
    .kernarg_segment_align: 8
    .kernarg_segment_size: 88
    .language:       OpenCL C
    .language_version:
      - 2
      - 0
    .max_flat_workgroup_size: 182
    .name:           fft_rtc_back_len1638_factors_13_2_3_7_3_wgs_182_tpt_182_halfLds_sp_ip_CI_sbrr_dirReg
    .private_segment_fixed_size: 0
    .sgpr_count:     25
    .sgpr_spill_count: 0
    .symbol:         fft_rtc_back_len1638_factors_13_2_3_7_3_wgs_182_tpt_182_halfLds_sp_ip_CI_sbrr_dirReg.kd
    .uniform_work_group_size: 1
    .uses_dynamic_stack: false
    .vgpr_count:     100
    .vgpr_spill_count: 0
    .wavefront_size: 32
    .workgroup_processor_mode: 1
amdhsa.target:   amdgcn-amd-amdhsa--gfx1030
amdhsa.version:
  - 1
  - 2
...

	.end_amdgpu_metadata
